;; amdgpu-corpus repo=ROCm/rocFFT kind=compiled arch=gfx1030 opt=O3
	.text
	.amdgcn_target "amdgcn-amd-amdhsa--gfx1030"
	.amdhsa_code_object_version 6
	.protected	bluestein_single_fwd_len10_dim1_dp_op_CI_CI ; -- Begin function bluestein_single_fwd_len10_dim1_dp_op_CI_CI
	.globl	bluestein_single_fwd_len10_dim1_dp_op_CI_CI
	.p2align	8
	.type	bluestein_single_fwd_len10_dim1_dp_op_CI_CI,@function
bluestein_single_fwd_len10_dim1_dp_op_CI_CI: ; @bluestein_single_fwd_len10_dim1_dp_op_CI_CI
; %bb.0:
	s_load_dwordx4 s[12:15], s[4:5], 0x28
	v_lshl_or_b32 v1, s6, 6, v0
	v_mov_b32_e32 v2, 0
	s_mov_b32 s0, exec_lo
	s_waitcnt lgkmcnt(0)
	v_cmpx_gt_u64_e64 s[12:13], v[1:2]
	s_cbranch_execz .LBB0_2
; %bb.1:
	s_clause 0x1
	s_load_dwordx4 s[0:3], s[4:5], 0x18
	s_load_dwordx2 s[88:89], s[4:5], 0x0
	v_mul_u32_u24_e32 v0, 10, v0
	s_mov_b32 s85, 0xbfee6f0e
	s_mov_b32 s24, 0x4755a5e
	;; [unrolled: 1-line block ×4, first 2 shown]
	v_lshlrev_b32_e32 v0, 4, v0
	s_mov_b32 s86, s24
	s_mov_b32 s26, 0x372fe950
	;; [unrolled: 1-line block ×9, first 2 shown]
	s_load_dwordx2 s[4:5], s[4:5], 0x38
	s_waitcnt lgkmcnt(0)
	s_load_dwordx4 s[8:11], s[0:1], 0x0
	s_waitcnt lgkmcnt(0)
	v_mad_u64_u32 v[2:3], null, s10, v1, 0
	s_lshl_b64 s[0:1], s[8:9], 4
	s_lshl_b64 s[6:7], s[8:9], 5
	;; [unrolled: 1-line block ×3, first 2 shown]
	v_mad_u64_u32 v[3:4], null, s11, v1, v[3:4]
	s_lshl_b64 s[10:11], s[8:9], 6
	v_lshlrev_b64 v[2:3], 4, v[2:3]
	v_add_co_u32 v2, vcc_lo, s14, v2
	v_add_co_ci_u32_e32 v3, vcc_lo, s15, v3, vcc_lo
	v_add_co_u32 v6, vcc_lo, v2, s0
	v_mad_u64_u32 v[22:23], null, s8, 48, v[2:3]
	v_mad_u64_u32 v[26:27], null, 0x50, s8, v[2:3]
	;; [unrolled: 1-line block ×4, first 2 shown]
	v_add_co_ci_u32_e32 v7, vcc_lo, s1, v3, vcc_lo
	v_add_co_u32 v10, vcc_lo, v2, s6
	v_mad_u64_u32 v[38:39], null, 0x90, s8, v[2:3]
	v_add_co_ci_u32_e32 v11, vcc_lo, s7, v3, vcc_lo
	v_mov_b32_e32 v12, v23
	v_mov_b32_e32 v13, v27
	v_add_co_u32 v14, vcc_lo, v2, s10
	v_add_co_ci_u32_e32 v15, vcc_lo, s11, v3, vcc_lo
	v_mov_b32_e32 v16, v31
	v_mov_b32_e32 v17, v35
	v_add_co_u32 v18, vcc_lo, v2, s12
	v_mad_u64_u32 v[23:24], null, s9, 48, v[12:13]
	v_mov_b32_e32 v20, v39
	v_mad_u64_u32 v[24:25], null, 0x50, s9, v[13:14]
	v_mad_u64_u32 v[28:29], null, 0x60, s9, v[16:17]
	;; [unrolled: 1-line block ×4, first 2 shown]
	v_add_co_ci_u32_e32 v19, vcc_lo, s13, v3, vcc_lo
	s_clause 0x1
	global_load_dwordx4 v[2:5], v[2:3], off
	global_load_dwordx4 v[6:9], v[6:7], off
	v_mov_b32_e32 v27, v24
	s_clause 0x3
	global_load_dwordx4 v[10:13], v[10:11], off
	global_load_dwordx4 v[14:17], v[14:15], off
	;; [unrolled: 1-line block ×4, first 2 shown]
	v_mov_b32_e32 v31, v28
	v_mov_b32_e32 v35, v32
	global_load_dwordx4 v[26:29], v[26:27], off
	v_mov_b32_e32 v39, v36
	s_clause 0x2
	global_load_dwordx4 v[30:33], v[30:31], off
	global_load_dwordx4 v[34:37], v[34:35], off
	;; [unrolled: 1-line block ×3, first 2 shown]
	s_clause 0x2
	s_load_dwordx16 s[52:67], s[88:89], 0x0
	s_load_dwordx16 s[36:51], s[88:89], 0x40
	;; [unrolled: 1-line block ×3, first 2 shown]
	s_load_dwordx4 s[0:3], s[2:3], 0x0
	s_mov_b32 s6, 0x134454ff
	s_mov_b32 s7, 0x3fee6f0e
	;; [unrolled: 1-line block ×3, first 2 shown]
	s_waitcnt vmcnt(9) lgkmcnt(0)
	v_mul_f64 v[42:43], v[4:5], s[54:55]
	v_mul_f64 v[44:45], v[2:3], s[54:55]
	s_waitcnt vmcnt(8)
	v_mul_f64 v[46:47], v[8:9], s[58:59]
	v_mul_f64 v[48:49], v[6:7], s[58:59]
	s_waitcnt vmcnt(7)
	;; [unrolled: 3-line block ×9, first 2 shown]
	v_mul_f64 v[78:79], v[40:41], s[14:15]
	v_mul_f64 v[80:81], v[38:39], s[14:15]
	v_fma_f64 v[2:3], v[2:3], s[52:53], v[42:43]
	v_fma_f64 v[4:5], v[4:5], s[52:53], -v[44:45]
	v_fma_f64 v[6:7], v[6:7], s[56:57], v[46:47]
	v_fma_f64 v[8:9], v[8:9], s[56:57], -v[48:49]
	;; [unrolled: 2-line block ×10, first 2 shown]
	ds_write_b128 v0, v[2:5]
	ds_write_b128 v0, v[6:9] offset:16
	ds_write_b128 v0, v[10:13] offset:32
	;; [unrolled: 1-line block ×9, first 2 shown]
	s_waitcnt lgkmcnt(0)
	s_barrier
	buffer_gl0_inv
	ds_read_b128 v[2:5], v0 offset:48
	ds_read_b128 v[6:9], v0 offset:80
	;; [unrolled: 1-line block ×8, first 2 shown]
	ds_read_b128 v[34:37], v0
	ds_read_b128 v[38:41], v0 offset:16
	s_waitcnt lgkmcnt(8)
	v_add_f64 v[86:87], v[2:3], -v[6:7]
	s_waitcnt lgkmcnt(7)
	v_add_f64 v[42:43], v[6:7], v[10:11]
	s_waitcnt lgkmcnt(6)
	v_add_f64 v[44:45], v[4:5], v[16:17]
	v_add_f64 v[46:47], v[2:3], v[14:15]
	;; [unrolled: 1-line block ×3, first 2 shown]
	v_add_f64 v[60:61], v[4:5], -v[16:17]
	v_add_f64 v[62:63], v[8:9], -v[12:13]
	;; [unrolled: 1-line block ×4, first 2 shown]
	s_waitcnt lgkmcnt(1)
	v_add_f64 v[50:51], v[34:35], v[18:19]
	v_add_f64 v[52:53], v[22:23], v[26:27]
	;; [unrolled: 1-line block ×5, first 2 shown]
	v_add_f64 v[88:89], v[14:15], -v[10:11]
	v_add_f64 v[90:91], v[6:7], -v[2:3]
	;; [unrolled: 1-line block ×7, first 2 shown]
	v_add_f64 v[76:77], v[36:37], v[20:21]
	s_waitcnt lgkmcnt(0)
	v_add_f64 v[2:3], v[38:39], v[2:3]
	v_fma_f64 v[42:43], v[42:43], -0.5, v[38:39]
	v_fma_f64 v[44:45], v[44:45], -0.5, v[40:41]
	;; [unrolled: 1-line block ×4, first 2 shown]
	v_add_f64 v[4:5], v[40:41], v[4:5]
	v_add_f64 v[54:55], v[20:21], -v[32:33]
	v_add_f64 v[56:57], v[24:25], -v[28:29]
	;; [unrolled: 1-line block ×8, first 2 shown]
	v_fma_f64 v[38:39], v[52:53], -0.5, v[34:35]
	v_add_f64 v[22:23], v[50:51], v[22:23]
	v_fma_f64 v[34:35], v[68:69], -0.5, v[34:35]
	v_fma_f64 v[40:41], v[78:79], -0.5, v[36:37]
	;; [unrolled: 1-line block ×3, first 2 shown]
	v_add_f64 v[50:51], v[86:87], v[88:89]
	v_add_f64 v[52:53], v[90:91], v[92:93]
	;; [unrolled: 1-line block ×3, first 2 shown]
	v_add_f64 v[82:83], v[20:21], -v[24:25]
	v_fma_f64 v[100:101], v[60:61], s[6:7], v[42:43]
	v_fma_f64 v[102:103], v[64:65], s[6:7], v[44:45]
	;; [unrolled: 1-line block ×8, first 2 shown]
	v_add_f64 v[20:21], v[24:25], -v[20:21]
	v_add_f64 v[24:25], v[76:77], v[24:25]
	v_add_f64 v[2:3], v[2:3], v[6:7]
	;; [unrolled: 1-line block ×3, first 2 shown]
	v_add_f64 v[110:111], v[32:33], -v[28:29]
	v_add_f64 v[58:59], v[58:59], v[66:67]
	v_add_f64 v[66:67], v[70:71], v[74:75]
	v_fma_f64 v[6:7], v[54:55], s[6:7], v[38:39]
	v_fma_f64 v[8:9], v[54:55], s[84:85], v[38:39]
	;; [unrolled: 1-line block ×5, first 2 shown]
	v_add_f64 v[112:113], v[28:29], -v[32:33]
	v_fma_f64 v[40:41], v[18:19], s[6:7], v[40:41]
	v_fma_f64 v[78:79], v[62:63], s[24:25], v[100:101]
	;; [unrolled: 1-line block ×7, first 2 shown]
	v_add_f64 v[62:63], v[98:99], v[106:107]
	v_fma_f64 v[60:61], v[64:65], s[24:25], v[108:109]
	v_fma_f64 v[72:73], v[80:81], s[6:7], v[36:37]
	;; [unrolled: 1-line block ×4, first 2 shown]
	v_add_f64 v[22:23], v[22:23], v[26:27]
	v_add_f64 v[24:25], v[24:25], v[28:29]
	;; [unrolled: 1-line block ×4, first 2 shown]
	v_fma_f64 v[6:7], v[56:57], s[24:25], v[6:7]
	v_fma_f64 v[8:9], v[56:57], s[86:87], v[8:9]
	v_fma_f64 v[10:11], v[54:55], s[24:25], v[38:39]
	v_fma_f64 v[12:13], v[54:55], s[86:87], v[34:35]
	v_fma_f64 v[26:27], v[80:81], s[86:87], v[70:71]
	v_add_f64 v[20:21], v[20:21], v[112:113]
	v_fma_f64 v[28:29], v[80:81], s[24:25], v[40:41]
	v_fma_f64 v[64:65], v[50:51], s[26:27], v[78:79]
	;; [unrolled: 1-line block ×7, first 2 shown]
	v_add_f64 v[50:51], v[82:83], v[110:111]
	v_fma_f64 v[52:53], v[62:63], s[26:27], v[60:61]
	v_fma_f64 v[34:35], v[18:19], s[86:87], v[72:73]
	;; [unrolled: 1-line block ×4, first 2 shown]
	v_add_f64 v[22:23], v[22:23], v[30:31]
	v_add_f64 v[24:25], v[24:25], v[32:33]
	v_add_f64 v[14:15], v[2:3], v[14:15]
	v_add_f64 v[16:17], v[4:5], v[16:17]
	v_fma_f64 v[30:31], v[58:59], s[26:27], v[6:7]
	v_fma_f64 v[32:33], v[58:59], s[26:27], v[8:9]
	;; [unrolled: 1-line block ×4, first 2 shown]
	v_mul_f64 v[38:39], v[64:65], s[28:29]
	v_mul_f64 v[56:57], v[64:65], s[86:87]
	;; [unrolled: 1-line block ×8, first 2 shown]
	v_fma_f64 v[68:69], v[50:51], s[26:27], v[26:27]
	v_fma_f64 v[50:51], v[50:51], s[26:27], v[28:29]
	;; [unrolled: 1-line block ×4, first 2 shown]
	v_add_f64 v[2:3], v[22:23], v[14:15]
	v_add_f64 v[4:5], v[24:25], v[16:17]
	v_add_f64 v[6:7], v[22:23], -v[14:15]
	v_add_f64 v[8:9], v[24:25], -v[16:17]
	v_fma_f64 v[26:27], v[36:37], s[24:25], v[38:39]
	v_fma_f64 v[36:37], v[36:37], s[28:29], v[56:57]
	;; [unrolled: 1-line block ×8, first 2 shown]
	v_add_f64 v[10:11], v[30:31], v[26:27]
	v_add_f64 v[12:13], v[68:69], v[36:37]
	v_add_f64 v[14:15], v[58:59], v[28:29]
	v_add_f64 v[16:17], v[70:71], v[40:41]
	v_add_f64 v[18:19], v[66:67], v[34:35]
	v_add_f64 v[20:21], v[72:73], v[44:45]
	v_add_f64 v[22:23], v[32:33], v[38:39]
	v_add_f64 v[24:25], v[50:51], v[42:43]
	v_add_f64 v[26:27], v[30:31], -v[26:27]
	v_add_f64 v[30:31], v[58:59], -v[28:29]
	;; [unrolled: 1-line block ×8, first 2 shown]
	ds_write_b128 v0, v[2:5]
	ds_write_b128 v0, v[6:9] offset:80
	ds_write_b128 v0, v[10:13] offset:16
	;; [unrolled: 1-line block ×9, first 2 shown]
	s_waitcnt lgkmcnt(0)
	s_barrier
	buffer_gl0_inv
	s_load_dwordx16 s[68:83], s[88:89], 0xc0
	ds_read_b128 v[2:5], v0 offset:32
	ds_read_b128 v[6:9], v0 offset:48
	;; [unrolled: 1-line block ×4, first 2 shown]
	ds_read_b128 v[18:21], v0
	ds_read_b128 v[22:25], v0 offset:16
	s_waitcnt lgkmcnt(0)
	v_mul_f64 v[26:27], v[4:5], s[70:71]
	v_mul_f64 v[28:29], v[2:3], s[70:71]
	;; [unrolled: 1-line block ×12, first 2 shown]
	s_lshl_b64 s[18:19], s[0:1], 5
	v_fma_f64 v[2:3], v[2:3], s[68:69], -v[26:27]
	v_fma_f64 v[4:5], v[4:5], s[68:69], v[28:29]
	v_fma_f64 v[6:7], v[6:7], s[72:73], -v[30:31]
	v_fma_f64 v[8:9], v[8:9], s[72:73], v[32:33]
	;; [unrolled: 2-line block ×4, first 2 shown]
	s_load_dwordx16 s[68:83], s[88:89], 0x100
	ds_read_b128 v[26:29], v0 offset:96
	ds_read_b128 v[30:33], v0 offset:112
	;; [unrolled: 1-line block ×4, first 2 shown]
	v_fma_f64 v[18:19], v[18:19], s[16:17], -v[42:43]
	v_fma_f64 v[20:21], v[20:21], s[16:17], v[44:45]
	v_fma_f64 v[22:23], v[22:23], s[20:21], -v[46:47]
	v_fma_f64 v[24:25], v[24:25], s[20:21], v[48:49]
	v_mad_u64_u32 v[42:43], null, s2, v1, 0
	s_lshl_b64 s[16:17], s[0:1], 4
	s_waitcnt lgkmcnt(0)
	v_mul_f64 v[50:51], v[28:29], s[70:71]
	v_mul_f64 v[52:53], v[26:27], s[70:71]
	;; [unrolled: 1-line block ×8, first 2 shown]
	v_fma_f64 v[26:27], v[26:27], s[68:69], -v[50:51]
	v_fma_f64 v[28:29], v[28:29], s[68:69], v[52:53]
	v_fma_f64 v[30:31], v[30:31], s[72:73], -v[54:55]
	v_fma_f64 v[32:33], v[32:33], s[72:73], v[56:57]
	;; [unrolled: 2-line block ×4, first 2 shown]
	ds_write_b128 v0, v[18:21]
	ds_write_b128 v0, v[22:25] offset:16
	ds_write_b128 v0, v[2:5] offset:32
	;; [unrolled: 1-line block ×9, first 2 shown]
	s_waitcnt lgkmcnt(0)
	s_barrier
	buffer_gl0_inv
	ds_read_b128 v[2:5], v0 offset:48
	ds_read_b128 v[6:9], v0 offset:80
	;; [unrolled: 1-line block ×6, first 2 shown]
	ds_read_b128 v[26:29], v0
	ds_read_b128 v[30:33], v0 offset:96
	ds_read_b128 v[34:37], v0 offset:128
	;; [unrolled: 1-line block ×3, first 2 shown]
	s_waitcnt lgkmcnt(4)
	v_add_f64 v[59:60], v[18:19], -v[22:23]
	s_waitcnt lgkmcnt(3)
	v_add_f64 v[51:52], v[26:27], v[18:19]
	v_add_f64 v[44:45], v[8:9], v[12:13]
	;; [unrolled: 1-line block ×4, first 2 shown]
	v_add_f64 v[65:66], v[2:3], -v[14:15]
	v_add_f64 v[67:68], v[6:7], -v[10:11]
	;; [unrolled: 1-line block ×3, first 2 shown]
	s_waitcnt lgkmcnt(2)
	v_add_f64 v[53:54], v[22:23], v[30:31]
	s_waitcnt lgkmcnt(1)
	v_add_f64 v[69:70], v[18:19], v[34:35]
	v_add_f64 v[79:80], v[24:25], v[32:33]
	;; [unrolled: 1-line block ×3, first 2 shown]
	v_add_f64 v[87:88], v[2:3], -v[6:7]
	v_add_f64 v[89:90], v[14:15], -v[10:11]
	v_add_f64 v[91:92], v[4:5], -v[8:9]
	v_add_f64 v[93:94], v[16:17], -v[12:13]
	v_add_f64 v[95:96], v[8:9], -v[4:5]
	v_add_f64 v[97:98], v[12:13], -v[16:17]
	v_add_f64 v[99:100], v[8:9], -v[12:13]
	v_add_f64 v[77:78], v[28:29], v[20:21]
	v_add_f64 v[55:56], v[20:21], -v[36:37]
	v_add_f64 v[57:58], v[24:25], -v[32:33]
	;; [unrolled: 1-line block ×4, first 2 shown]
	v_mad_u64_u32 v[48:49], null, s3, v1, v[43:44]
	v_add_f64 v[49:50], v[6:7], v[10:11]
	s_waitcnt lgkmcnt(0)
	v_fma_f64 v[44:45], v[44:45], -0.5, v[40:41]
	v_fma_f64 v[46:47], v[46:47], -0.5, v[40:41]
	;; [unrolled: 1-line block ×3, first 2 shown]
	v_add_f64 v[75:76], v[30:31], -v[34:35]
	v_add_f64 v[18:19], v[18:19], -v[34:35]
	v_mov_b32_e32 v43, v48
	v_add_f64 v[81:82], v[22:23], -v[30:31]
	v_add_f64 v[111:112], v[10:11], -v[14:15]
	v_add_f64 v[22:23], v[51:52], v[22:23]
	v_add_f64 v[83:84], v[20:21], -v[24:25]
	v_add_f64 v[20:21], v[24:25], -v[20:21]
	;; [unrolled: 1-line block ×4, first 2 shown]
	v_lshlrev_b64 v[42:43], 4, v[42:43]
	v_add_f64 v[24:25], v[77:78], v[24:25]
	s_mov_b32 s2, 0x9999999a
	s_mov_b32 s3, 0x3fb99999
	v_add_f64 v[59:60], v[59:60], v[61:62]
	v_add_co_u32 v42, vcc_lo, s4, v42
	v_fma_f64 v[48:49], v[49:50], -0.5, v[38:39]
	v_fma_f64 v[103:104], v[65:66], s[6:7], v[44:45]
	v_fma_f64 v[105:106], v[67:68], s[84:85], v[46:47]
	;; [unrolled: 1-line block ×4, first 2 shown]
	v_add_f64 v[38:39], v[38:39], v[2:3]
	v_add_f64 v[1:2], v[6:7], -v[2:3]
	v_add_f64 v[3:4], v[40:41], v[4:5]
	v_fma_f64 v[40:41], v[53:54], -0.5, v[26:27]
	v_fma_f64 v[26:27], v[69:70], -0.5, v[26:27]
	;; [unrolled: 1-line block ×4, first 2 shown]
	v_add_f64 v[52:53], v[87:88], v[89:90]
	v_add_f64 v[69:70], v[91:92], v[93:94]
	;; [unrolled: 1-line block ×3, first 2 shown]
	v_fma_f64 v[85:86], v[99:100], s[6:7], v[63:64]
	v_fma_f64 v[63:64], v[99:100], s[84:85], v[63:64]
	v_add_f64 v[61:62], v[73:74], v[75:76]
	v_add_f64 v[22:23], v[22:23], v[30:31]
	;; [unrolled: 1-line block ×4, first 2 shown]
	v_add_co_ci_u32_e32 v43, vcc_lo, s5, v43, vcc_lo
	v_fma_f64 v[107:108], v[71:72], s[84:85], v[48:49]
	v_fma_f64 v[48:49], v[71:72], s[6:7], v[48:49]
	;; [unrolled: 1-line block ×6, first 2 shown]
	v_add_f64 v[5:6], v[38:39], v[6:7]
	v_add_f64 v[3:4], v[3:4], v[8:9]
	;; [unrolled: 1-line block ×3, first 2 shown]
	v_fma_f64 v[7:8], v[55:56], s[84:85], v[40:41]
	v_fma_f64 v[38:39], v[55:56], s[6:7], v[40:41]
	;; [unrolled: 1-line block ×10, first 2 shown]
	v_add_f64 v[22:23], v[22:23], v[34:35]
	v_add_f64 v[24:25], v[24:25], v[36:37]
	s_lshl_b64 s[4:5], s[0:1], 7
	v_fma_f64 v[65:66], v[99:100], s[86:87], v[107:108]
	v_fma_f64 v[48:49], v[99:100], s[24:25], v[48:49]
	;; [unrolled: 1-line block ×6, first 2 shown]
	v_add_f64 v[5:6], v[5:6], v[10:11]
	v_add_f64 v[3:4], v[3:4], v[12:13]
	;; [unrolled: 1-line block ×3, first 2 shown]
	v_fma_f64 v[7:8], v[57:58], s[86:87], v[7:8]
	v_fma_f64 v[9:10], v[57:58], s[24:25], v[38:39]
	;; [unrolled: 1-line block ×12, first 2 shown]
	v_mul_f64 v[48:49], v[71:72], s[86:87]
	v_mul_f64 v[50:51], v[77:78], s[84:85]
	;; [unrolled: 1-line block ×7, first 2 shown]
	v_add_f64 v[5:6], v[5:6], v[14:15]
	v_add_f64 v[13:14], v[3:4], v[16:17]
	v_fma_f64 v[34:35], v[59:60], s[26:27], v[7:8]
	v_fma_f64 v[36:37], v[59:60], s[26:27], v[9:10]
	;; [unrolled: 1-line block ×8, first 2 shown]
	v_mul_f64 v[56:57], v[65:66], s[24:25]
	v_fma_f64 v[26:27], v[65:66], s[28:29], v[48:49]
	v_fma_f64 v[38:39], v[40:41], s[26:27], v[50:51]
	;; [unrolled: 1-line block ×7, first 2 shown]
	v_add_f64 v[1:2], v[22:23], v[5:6]
	v_add_f64 v[3:4], v[24:25], v[13:14]
	v_add_f64 v[5:6], v[22:23], -v[5:6]
	v_add_f64 v[7:8], v[24:25], -v[13:14]
	v_add_co_u32 v54, vcc_lo, v42, s16
	v_add_co_ci_u32_e32 v55, vcc_lo, s17, v43, vcc_lo
	s_lshl_b64 s[6:7], s[0:1], 6
	v_fma_f64 v[52:53], v[71:72], s[28:29], v[56:57]
	v_mad_u64_u32 v[56:57], null, 0x70, s0, v[42:43]
	v_add_f64 v[9:10], v[34:35], v[26:27]
	v_add_f64 v[13:14], v[58:59], v[38:39]
	;; [unrolled: 1-line block ×7, first 2 shown]
	v_add_f64 v[25:26], v[34:35], -v[26:27]
	v_add_f64 v[29:30], v[58:59], -v[38:39]
	;; [unrolled: 1-line block ×7, first 2 shown]
	v_mad_u64_u32 v[46:47], null, s0, 48, v[42:43]
	v_mad_u64_u32 v[50:51], null, 0x50, s0, v[42:43]
	;; [unrolled: 1-line block ×3, first 2 shown]
	v_add_f64 v[11:12], v[67:68], v[52:53]
	v_add_f64 v[27:28], v[67:68], -v[52:53]
	ds_write_b128 v0, v[1:4]
	ds_write_b128 v0, v[5:8] offset:80
	ds_write_b128 v0, v[9:12] offset:16
	ds_write_b128 v0, v[13:16] offset:32
	ds_write_b128 v0, v[17:20] offset:48
	ds_write_b128 v0, v[21:24] offset:64
	ds_write_b128 v0, v[25:28] offset:96
	ds_write_b128 v0, v[29:32] offset:112
	ds_write_b128 v0, v[33:36] offset:128
	ds_write_b128 v0, v[37:40] offset:144
	s_waitcnt lgkmcnt(0)
	s_barrier
	buffer_gl0_inv
	ds_read_b128 v[1:4], v0
	ds_read_b128 v[5:8], v0 offset:16
	ds_read_b128 v[9:12], v0 offset:32
	;; [unrolled: 1-line block ×9, first 2 shown]
	v_mad_u64_u32 v[52:53], null, 0x60, s0, v[42:43]
	v_mov_b32_e32 v41, v47
	v_mov_b32_e32 v47, v51
	v_add_co_u32 v44, vcc_lo, v42, s18
	v_add_co_ci_u32_e32 v45, vcc_lo, s19, v43, vcc_lo
	v_mov_b32_e32 v51, v53
	v_mov_b32_e32 v53, v57
	;; [unrolled: 1-line block ×3, first 2 shown]
	v_mad_u64_u32 v[59:60], null, s1, 48, v[41:42]
	s_waitcnt lgkmcnt(9)
	v_mul_f64 v[60:61], s[54:55], v[3:4]
	v_mul_f64 v[62:63], s[54:55], v[1:2]
	s_waitcnt lgkmcnt(8)
	v_mul_f64 v[64:65], s[58:59], v[7:8]
	v_mul_f64 v[66:67], s[58:59], v[5:6]
	;; [unrolled: 3-line block ×10, first 2 shown]
	v_add_co_u32 v48, vcc_lo, v42, s6
	v_fma_f64 v[0:1], s[52:53], v[1:2], v[60:61]
	v_fma_f64 v[2:3], s[52:53], v[3:4], -v[62:63]
	v_fma_f64 v[4:5], s[56:57], v[5:6], v[64:65]
	v_fma_f64 v[6:7], s[56:57], v[7:8], -v[66:67]
	;; [unrolled: 2-line block ×10, first 2 shown]
	v_mad_u64_u32 v[60:61], null, 0x70, s1, v[53:54]
	v_mul_f64 v[0:1], v[0:1], s[2:3]
	v_mul_f64 v[2:3], v[2:3], s[2:3]
	v_mul_f64 v[4:5], v[4:5], s[2:3]
	v_mul_f64 v[6:7], v[6:7], s[2:3]
	v_mul_f64 v[8:9], v[8:9], s[2:3]
	v_mul_f64 v[10:11], v[10:11], s[2:3]
	v_mul_f64 v[12:13], v[12:13], s[2:3]
	v_mul_f64 v[14:15], v[14:15], s[2:3]
	v_mul_f64 v[16:17], v[16:17], s[2:3]
	v_mul_f64 v[18:19], v[18:19], s[2:3]
	v_mul_f64 v[20:21], v[20:21], s[2:3]
	v_mul_f64 v[22:23], v[22:23], s[2:3]
	v_mul_f64 v[24:25], v[24:25], s[2:3]
	v_mul_f64 v[26:27], v[26:27], s[2:3]
	v_mul_f64 v[28:29], v[28:29], s[2:3]
	v_mul_f64 v[30:31], v[30:31], s[2:3]
	v_mul_f64 v[32:33], v[32:33], s[2:3]
	v_mul_f64 v[34:35], v[34:35], s[2:3]
	v_mul_f64 v[36:37], v[36:37], s[2:3]
	v_mul_f64 v[38:39], v[38:39], s[2:3]
	v_mad_u64_u32 v[100:101], null, 0x50, s1, v[47:48]
	v_mad_u64_u32 v[40:41], null, 0x60, s1, v[51:52]
	;; [unrolled: 1-line block ×3, first 2 shown]
	v_add_co_ci_u32_e32 v49, vcc_lo, s7, v43, vcc_lo
	v_add_co_u32 v62, vcc_lo, v42, s4
	v_mov_b32_e32 v47, v59
	v_add_co_ci_u32_e32 v63, vcc_lo, s5, v43, vcc_lo
	v_mov_b32_e32 v51, v100
	v_mov_b32_e32 v53, v40
	;; [unrolled: 1-line block ×4, first 2 shown]
	global_store_dwordx4 v[42:43], v[0:3], off
	global_store_dwordx4 v[54:55], v[4:7], off
	global_store_dwordx4 v[44:45], v[8:11], off
	global_store_dwordx4 v[46:47], v[12:15], off
	global_store_dwordx4 v[48:49], v[16:19], off
	global_store_dwordx4 v[50:51], v[20:23], off
	global_store_dwordx4 v[52:53], v[24:27], off
	global_store_dwordx4 v[56:57], v[28:31], off
	global_store_dwordx4 v[62:63], v[32:35], off
	global_store_dwordx4 v[58:59], v[36:39], off
.LBB0_2:
	s_endpgm
	.section	.rodata,"a",@progbits
	.p2align	6, 0x0
	.amdhsa_kernel bluestein_single_fwd_len10_dim1_dp_op_CI_CI
		.amdhsa_group_segment_fixed_size 10240
		.amdhsa_private_segment_fixed_size 0
		.amdhsa_kernarg_size 104
		.amdhsa_user_sgpr_count 6
		.amdhsa_user_sgpr_private_segment_buffer 1
		.amdhsa_user_sgpr_dispatch_ptr 0
		.amdhsa_user_sgpr_queue_ptr 0
		.amdhsa_user_sgpr_kernarg_segment_ptr 1
		.amdhsa_user_sgpr_dispatch_id 0
		.amdhsa_user_sgpr_flat_scratch_init 0
		.amdhsa_user_sgpr_private_segment_size 0
		.amdhsa_wavefront_size32 1
		.amdhsa_uses_dynamic_stack 0
		.amdhsa_system_sgpr_private_segment_wavefront_offset 0
		.amdhsa_system_sgpr_workgroup_id_x 1
		.amdhsa_system_sgpr_workgroup_id_y 0
		.amdhsa_system_sgpr_workgroup_id_z 0
		.amdhsa_system_sgpr_workgroup_info 0
		.amdhsa_system_vgpr_workitem_id 0
		.amdhsa_next_free_vgpr 114
		.amdhsa_next_free_sgpr 90
		.amdhsa_reserve_vcc 1
		.amdhsa_reserve_flat_scratch 0
		.amdhsa_float_round_mode_32 0
		.amdhsa_float_round_mode_16_64 0
		.amdhsa_float_denorm_mode_32 3
		.amdhsa_float_denorm_mode_16_64 3
		.amdhsa_dx10_clamp 1
		.amdhsa_ieee_mode 1
		.amdhsa_fp16_overflow 0
		.amdhsa_workgroup_processor_mode 1
		.amdhsa_memory_ordered 1
		.amdhsa_forward_progress 0
		.amdhsa_shared_vgpr_count 0
		.amdhsa_exception_fp_ieee_invalid_op 0
		.amdhsa_exception_fp_denorm_src 0
		.amdhsa_exception_fp_ieee_div_zero 0
		.amdhsa_exception_fp_ieee_overflow 0
		.amdhsa_exception_fp_ieee_underflow 0
		.amdhsa_exception_fp_ieee_inexact 0
		.amdhsa_exception_int_div_zero 0
	.end_amdhsa_kernel
	.text
.Lfunc_end0:
	.size	bluestein_single_fwd_len10_dim1_dp_op_CI_CI, .Lfunc_end0-bluestein_single_fwd_len10_dim1_dp_op_CI_CI
                                        ; -- End function
	.section	.AMDGPU.csdata,"",@progbits
; Kernel info:
; codeLenInByte = 5272
; NumSgprs: 92
; NumVgprs: 114
; ScratchSize: 0
; MemoryBound: 0
; FloatMode: 240
; IeeeMode: 1
; LDSByteSize: 10240 bytes/workgroup (compile time only)
; SGPRBlocks: 11
; VGPRBlocks: 14
; NumSGPRsForWavesPerEU: 92
; NumVGPRsForWavesPerEU: 114
; Occupancy: 6
; WaveLimiterHint : 1
; COMPUTE_PGM_RSRC2:SCRATCH_EN: 0
; COMPUTE_PGM_RSRC2:USER_SGPR: 6
; COMPUTE_PGM_RSRC2:TRAP_HANDLER: 0
; COMPUTE_PGM_RSRC2:TGID_X_EN: 1
; COMPUTE_PGM_RSRC2:TGID_Y_EN: 0
; COMPUTE_PGM_RSRC2:TGID_Z_EN: 0
; COMPUTE_PGM_RSRC2:TIDIG_COMP_CNT: 0
	.text
	.p2alignl 6, 3214868480
	.fill 48, 4, 3214868480
	.type	__hip_cuid_6f0fb77dc8dfb732,@object ; @__hip_cuid_6f0fb77dc8dfb732
	.section	.bss,"aw",@nobits
	.globl	__hip_cuid_6f0fb77dc8dfb732
__hip_cuid_6f0fb77dc8dfb732:
	.byte	0                               ; 0x0
	.size	__hip_cuid_6f0fb77dc8dfb732, 1

	.ident	"AMD clang version 19.0.0git (https://github.com/RadeonOpenCompute/llvm-project roc-6.4.0 25133 c7fe45cf4b819c5991fe208aaa96edf142730f1d)"
	.section	".note.GNU-stack","",@progbits
	.addrsig
	.addrsig_sym __hip_cuid_6f0fb77dc8dfb732
	.amdgpu_metadata
---
amdhsa.kernels:
  - .args:
      - .actual_access:  read_only
        .address_space:  global
        .offset:         0
        .size:           8
        .value_kind:     global_buffer
      - .actual_access:  read_only
        .address_space:  global
        .offset:         8
        .size:           8
        .value_kind:     global_buffer
      - .actual_access:  read_only
        .address_space:  global
        .offset:         16
        .size:           8
        .value_kind:     global_buffer
      - .actual_access:  read_only
        .address_space:  global
        .offset:         24
        .size:           8
        .value_kind:     global_buffer
      - .actual_access:  read_only
        .address_space:  global
        .offset:         32
        .size:           8
        .value_kind:     global_buffer
      - .offset:         40
        .size:           8
        .value_kind:     by_value
      - .address_space:  global
        .offset:         48
        .size:           8
        .value_kind:     global_buffer
      - .address_space:  global
        .offset:         56
        .size:           8
        .value_kind:     global_buffer
      - .address_space:  global
        .offset:         64
        .size:           8
        .value_kind:     global_buffer
      - .address_space:  global
        .offset:         72
        .size:           8
        .value_kind:     global_buffer
      - .offset:         80
        .size:           4
        .value_kind:     by_value
      - .address_space:  global
        .offset:         88
        .size:           8
        .value_kind:     global_buffer
      - .address_space:  global
        .offset:         96
        .size:           8
        .value_kind:     global_buffer
    .group_segment_fixed_size: 10240
    .kernarg_segment_align: 8
    .kernarg_segment_size: 104
    .language:       OpenCL C
    .language_version:
      - 2
      - 0
    .max_flat_workgroup_size: 64
    .name:           bluestein_single_fwd_len10_dim1_dp_op_CI_CI
    .private_segment_fixed_size: 0
    .sgpr_count:     92
    .sgpr_spill_count: 0
    .symbol:         bluestein_single_fwd_len10_dim1_dp_op_CI_CI.kd
    .uniform_work_group_size: 1
    .uses_dynamic_stack: false
    .vgpr_count:     114
    .vgpr_spill_count: 0
    .wavefront_size: 32
    .workgroup_processor_mode: 1
amdhsa.target:   amdgcn-amd-amdhsa--gfx1030
amdhsa.version:
  - 1
  - 2
...

	.end_amdgpu_metadata
